;; amdgpu-corpus repo=ROCm/rocFFT kind=compiled arch=gfx1201 opt=O3
	.text
	.amdgcn_target "amdgcn-amd-amdhsa--gfx1201"
	.amdhsa_code_object_version 6
	.protected	bluestein_single_back_len1792_dim1_dp_op_CI_CI ; -- Begin function bluestein_single_back_len1792_dim1_dp_op_CI_CI
	.globl	bluestein_single_back_len1792_dim1_dp_op_CI_CI
	.p2align	8
	.type	bluestein_single_back_len1792_dim1_dp_op_CI_CI,@function
bluestein_single_back_len1792_dim1_dp_op_CI_CI: ; @bluestein_single_back_len1792_dim1_dp_op_CI_CI
; %bb.0:
	s_load_b128 s[8:11], s[0:1], 0x28
	v_mul_u32_u24_e32 v1, 0x125, v0
	s_mov_b32 s2, exec_lo
	v_mov_b32_e32 v185, 0
	s_delay_alu instid0(VALU_DEP_2) | instskip(NEXT) | instid1(VALU_DEP_1)
	v_lshrrev_b32_e32 v1, 16, v1
	v_add_nc_u32_e32 v184, ttmp9, v1
	s_wait_kmcnt 0x0
	s_delay_alu instid0(VALU_DEP_1)
	v_cmpx_gt_u64_e64 s[8:9], v[184:185]
	s_cbranch_execz .LBB0_10
; %bb.1:
	s_load_b128 s[4:7], s[0:1], 0x18
	v_mul_lo_u16 v1, 0xe0, v1
                                        ; implicit-def: $vgpr160_vgpr161
                                        ; implicit-def: $vgpr168_vgpr169
                                        ; implicit-def: $vgpr164_vgpr165
                                        ; implicit-def: $vgpr172_vgpr173
                                        ; implicit-def: $vgpr176_vgpr177
                                        ; implicit-def: $vgpr180_vgpr181
	s_delay_alu instid0(VALU_DEP_1) | instskip(NEXT) | instid1(VALU_DEP_1)
	v_sub_nc_u16 v44, v0, v1
	v_and_b32_e32 v187, 0xffff, v44
	s_delay_alu instid0(VALU_DEP_1)
	v_lshlrev_b32_e32 v190, 6, v187
	v_and_b32_e32 v108, 15, v187
	v_and_b32_e32 v132, 63, v187
	v_lshlrev_b32_e32 v188, 4, v187
	s_wait_kmcnt 0x0
	s_load_b128 s[12:15], s[4:5], 0x0
	s_wait_kmcnt 0x0
	v_mad_co_u64_u32 v[0:1], null, s14, v184, 0
	v_mad_co_u64_u32 v[2:3], null, s12, v187, 0
	s_mul_i32 s4, s13, 0xffffba00
	s_mul_u64 s[2:3], s[12:13], 0x1c00
	s_sub_co_i32 s4, s4, s12
	s_delay_alu instid0(VALU_DEP_1) | instskip(NEXT) | instid1(VALU_DEP_1)
	v_mad_co_u64_u32 v[4:5], null, s15, v184, v[1:2]
	v_mad_co_u64_u32 v[5:6], null, s13, v187, v[3:4]
	v_mov_b32_e32 v1, v4
	s_delay_alu instid0(VALU_DEP_1) | instskip(NEXT) | instid1(VALU_DEP_3)
	v_lshlrev_b64_e32 v[0:1], 4, v[0:1]
	v_mov_b32_e32 v3, v5
	s_delay_alu instid0(VALU_DEP_2) | instskip(NEXT) | instid1(VALU_DEP_2)
	v_add_co_u32 v0, vcc_lo, s10, v0
	v_lshlrev_b64_e32 v[2:3], 4, v[2:3]
	s_delay_alu instid0(VALU_DEP_4) | instskip(SKIP_3) | instid1(VALU_DEP_2)
	v_add_co_ci_u32_e32 v1, vcc_lo, s11, v1, vcc_lo
	s_clause 0x1
	s_load_b128 s[8:11], s[0:1], 0x0
	s_load_b64 s[0:1], s[0:1], 0x38
	v_add_co_u32 v24, vcc_lo, v0, v2
	s_wait_alu 0xfffd
	v_add_co_ci_u32_e32 v25, vcc_lo, v1, v3, vcc_lo
	s_delay_alu instid0(VALU_DEP_2) | instskip(SKIP_1) | instid1(VALU_DEP_2)
	v_add_co_u32 v26, vcc_lo, v24, s2
	s_wait_alu 0xfffd
	v_add_co_ci_u32_e32 v27, vcc_lo, s3, v25, vcc_lo
	s_delay_alu instid0(VALU_DEP_2) | instskip(SKIP_1) | instid1(VALU_DEP_2)
	;; [unrolled: 4-line block ×3, first 2 shown]
	v_add_co_u32 v30, vcc_lo, v28, s2
	s_wait_alu 0xfffd
	v_add_co_ci_u32_e32 v31, vcc_lo, s3, v29, vcc_lo
	s_wait_kmcnt 0x0
	s_clause 0x3
	global_load_b128 v[0:3], v188, s[8:9] offset:14336
	global_load_b128 v[4:7], v188, s[8:9] offset:21504
	global_load_b128 v[12:15], v188, s[8:9]
	global_load_b128 v[8:11], v188, s[8:9] offset:3584
	v_mad_co_u64_u32 v[49:50], null, 0xffffba00, s12, v[30:31]
	s_clause 0x1
	global_load_b128 v[16:19], v188, s[8:9] offset:7168
	global_load_b128 v[20:23], v188, s[8:9] offset:10752
	s_clause 0x3
	global_load_b128 v[32:35], v[24:25], off
	global_load_b128 v[36:39], v[26:27], off
	;; [unrolled: 1-line block ×4, first 2 shown]
	v_add_nc_u32_e32 v50, s4, v50
	v_add_co_u32 v24, vcc_lo, v49, s2
	s_wait_alu 0xfffd
	s_delay_alu instid0(VALU_DEP_2) | instskip(NEXT) | instid1(VALU_DEP_2)
	v_add_co_ci_u32_e32 v25, vcc_lo, s3, v50, vcc_lo
	v_add_co_u32 v28, vcc_lo, v24, s2
	global_load_b128 v[49:52], v[49:50], off
	s_wait_alu 0xfffd
	v_add_co_ci_u32_e32 v29, vcc_lo, s3, v25, vcc_lo
	v_add_co_u32 v61, vcc_lo, v28, s2
	v_add_co_u32 v185, s2, s8, v188
	s_wait_alu 0xfffd
	s_delay_alu instid0(VALU_DEP_3)
	v_add_co_ci_u32_e32 v62, vcc_lo, s3, v29, vcc_lo
	global_load_b128 v[53:56], v[24:25], off
	global_load_b128 v[24:27], v188, s[8:9] offset:17920
	global_load_b128 v[57:60], v[28:29], off
	global_load_b128 v[28:31], v188, s[8:9] offset:25088
	global_load_b128 v[61:64], v[61:62], off
	s_load_b128 s[4:7], s[6:7], 0x0
	v_add_co_ci_u32_e64 v186, null, s9, 0, s2
	v_cmp_gt_u16_e32 vcc_lo, 32, v44
	s_wait_loadcnt 0x9
	v_mul_f64_e32 v[65:66], v[34:35], v[14:15]
	v_mul_f64_e32 v[67:68], v[32:33], v[14:15]
	s_wait_loadcnt 0x8
	v_mul_f64_e32 v[69:70], v[38:39], v[18:19]
	v_mul_f64_e32 v[71:72], v[36:37], v[18:19]
	;; [unrolled: 3-line block ×8, first 2 shown]
	v_fma_f64 v[32:33], v[32:33], v[12:13], v[65:66]
	v_fma_f64 v[34:35], v[34:35], v[12:13], -v[67:68]
	v_fma_f64 v[36:37], v[36:37], v[16:17], v[69:70]
	v_fma_f64 v[38:39], v[38:39], v[16:17], -v[71:72]
	;; [unrolled: 2-line block ×8, first 2 shown]
	v_and_b32_e32 v94, 3, v187
	ds_store_b128 v188, v[32:35]
	ds_store_b128 v188, v[49:52] offset:3584
	ds_store_b128 v188, v[36:39] offset:7168
	;; [unrolled: 1-line block ×7, first 2 shown]
	global_wb scope:SCOPE_SE
	s_wait_dscnt 0x0
	s_wait_kmcnt 0x0
	s_barrier_signal -1
	s_barrier_wait -1
	global_inv scope:SCOPE_SE
	ds_load_b128 v[32:35], v188 offset:14336
	ds_load_b128 v[36:39], v188
	ds_load_b128 v[40:43], v188 offset:7168
	ds_load_b128 v[45:48], v188 offset:21504
	;; [unrolled: 1-line block ×6, first 2 shown]
	global_wb scope:SCOPE_SE
	s_wait_dscnt 0x0
	s_barrier_signal -1
	s_barrier_wait -1
	global_inv scope:SCOPE_SE
	v_add_f64_e64 v[65:66], v[36:37], -v[32:33]
	v_add_f64_e64 v[67:68], v[38:39], -v[34:35]
	;; [unrolled: 1-line block ×8, first 2 shown]
	v_fma_f64 v[61:62], v[36:37], 2.0, -v[65:66]
	v_fma_f64 v[63:64], v[38:39], 2.0, -v[67:68]
	;; [unrolled: 1-line block ×8, first 2 shown]
	v_add_f64_e64 v[32:33], v[65:66], -v[32:33]
	v_add_f64_e32 v[34:35], v[67:68], v[34:35]
	v_add_f64_e64 v[36:37], v[69:70], -v[45:46]
	v_add_co_u32 v45, null, 0xe0, v187
	s_delay_alu instid0(VALU_DEP_1)
	v_lshlrev_b32_e32 v189, 6, v45
	v_and_b32_e32 v133, 63, v45
	v_add_f64_e64 v[40:41], v[61:62], -v[38:39]
	v_add_f64_e64 v[42:43], v[63:64], -v[42:43]
	v_add_f64_e32 v[38:39], v[71:72], v[53:54]
	v_add_f64_e64 v[46:47], v[73:74], -v[47:48]
	v_add_f64_e64 v[48:49], v[75:76], -v[49:50]
	v_fma_f64 v[50:51], v[65:66], 2.0, -v[32:33]
	v_fma_f64 v[52:53], v[67:68], 2.0, -v[34:35]
	;; [unrolled: 1-line block ×3, first 2 shown]
	v_mad_co_u64_u32 v[66:67], null, v94, 48, s[10:11]
	v_fma_f64 v[58:59], v[61:62], 2.0, -v[40:41]
	v_fma_f64 v[60:61], v[63:64], 2.0, -v[42:43]
	;; [unrolled: 1-line block ×5, first 2 shown]
	ds_store_b128 v190, v[40:43] offset:32
	ds_store_b128 v190, v[32:35] offset:48
	ds_store_b128 v190, v[58:61]
	ds_store_b128 v190, v[50:53] offset:16
	ds_store_b128 v189, v[62:65]
	ds_store_b128 v189, v[54:57] offset:16
	ds_store_b128 v189, v[46:49] offset:32
	;; [unrolled: 1-line block ×3, first 2 shown]
	global_wb scope:SCOPE_SE
	s_wait_dscnt 0x0
	s_barrier_signal -1
	s_barrier_wait -1
	global_inv scope:SCOPE_SE
	s_clause 0x2
	global_load_b128 v[40:43], v[66:67], off
	global_load_b128 v[36:39], v[66:67], off offset:16
	global_load_b128 v[32:35], v[66:67], off offset:32
	ds_load_b128 v[46:49], v188 offset:7168
	ds_load_b128 v[50:53], v188 offset:14336
	;; [unrolled: 1-line block ×6, first 2 shown]
	s_wait_loadcnt_dscnt 0x205
	v_mul_f64_e32 v[70:71], v[48:49], v[42:43]
	v_mul_f64_e32 v[72:73], v[46:47], v[42:43]
	s_wait_loadcnt_dscnt 0x104
	v_mul_f64_e32 v[74:75], v[52:53], v[38:39]
	v_mul_f64_e32 v[76:77], v[50:51], v[38:39]
	s_wait_loadcnt_dscnt 0x3
	v_mul_f64_e32 v[78:79], v[56:57], v[34:35]
	v_mul_f64_e32 v[80:81], v[54:55], v[34:35]
	s_wait_dscnt 0x2
	v_mul_f64_e32 v[82:83], v[60:61], v[42:43]
	v_mul_f64_e32 v[84:85], v[58:59], v[42:43]
	s_wait_dscnt 0x1
	v_mul_f64_e32 v[86:87], v[64:65], v[38:39]
	v_mul_f64_e32 v[88:89], v[62:63], v[38:39]
	;; [unrolled: 3-line block ×3, first 2 shown]
	v_fma_f64 v[70:71], v[46:47], v[40:41], -v[70:71]
	v_fma_f64 v[72:73], v[48:49], v[40:41], v[72:73]
	v_fma_f64 v[74:75], v[50:51], v[36:37], -v[74:75]
	v_fma_f64 v[76:77], v[52:53], v[36:37], v[76:77]
	v_fma_f64 v[54:55], v[54:55], v[32:33], -v[78:79]
	v_fma_f64 v[56:57], v[56:57], v[32:33], v[80:81]
	v_fma_f64 v[58:59], v[58:59], v[40:41], -v[82:83]
	v_fma_f64 v[60:61], v[60:61], v[40:41], v[84:85]
	v_fma_f64 v[62:63], v[62:63], v[36:37], -v[86:87]
	v_fma_f64 v[64:65], v[64:65], v[36:37], v[88:89]
	v_fma_f64 v[66:67], v[66:67], v[32:33], -v[90:91]
	v_fma_f64 v[68:69], v[68:69], v[32:33], v[92:93]
	ds_load_b128 v[46:49], v188
	ds_load_b128 v[50:53], v188 offset:3584
	global_wb scope:SCOPE_SE
	s_wait_dscnt 0x0
	s_barrier_signal -1
	s_barrier_wait -1
	global_inv scope:SCOPE_SE
	v_add_f64_e64 v[74:75], v[46:47], -v[74:75]
	v_add_f64_e64 v[76:77], v[48:49], -v[76:77]
	;; [unrolled: 1-line block ×8, first 2 shown]
	v_fma_f64 v[46:47], v[46:47], 2.0, -v[74:75]
	v_fma_f64 v[82:83], v[48:49], 2.0, -v[76:77]
	;; [unrolled: 1-line block ×4, first 2 shown]
	v_add_f64_e64 v[48:49], v[74:75], -v[56:57]
	v_fma_f64 v[70:71], v[50:51], 2.0, -v[78:79]
	v_fma_f64 v[84:85], v[52:53], 2.0, -v[80:81]
	;; [unrolled: 1-line block ×4, first 2 shown]
	v_add_f64_e32 v[50:51], v[76:77], v[54:55]
	v_add_f64_e64 v[52:53], v[78:79], -v[62:63]
	v_add_f64_e32 v[54:55], v[80:81], v[64:65]
	v_add_f64_e64 v[56:57], v[46:47], -v[66:67]
	v_add_f64_e64 v[58:59], v[82:83], -v[68:69]
	v_fma_f64 v[64:65], v[74:75], 2.0, -v[48:49]
	v_add_f64_e64 v[60:61], v[70:71], -v[72:73]
	v_add_f64_e64 v[62:63], v[84:85], -v[86:87]
	v_fma_f64 v[66:67], v[76:77], 2.0, -v[50:51]
	v_fma_f64 v[68:69], v[78:79], 2.0, -v[52:53]
	;; [unrolled: 1-line block ×4, first 2 shown]
	v_lshlrev_b32_e32 v47, 2, v187
	v_lshlrev_b32_e32 v46, 2, v45
	v_fma_f64 v[76:77], v[70:71], 2.0, -v[60:61]
	v_fma_f64 v[78:79], v[84:85], 2.0, -v[62:63]
	v_fma_f64 v[70:71], v[80:81], 2.0, -v[54:55]
	v_and_or_b32 v82, 0x3f0, v47, v94
	v_mad_co_u64_u32 v[80:81], null, v108, 48, s[10:11]
	v_and_or_b32 v83, 0x7f0, v46, v94
	s_delay_alu instid0(VALU_DEP_3) | instskip(NEXT) | instid1(VALU_DEP_2)
	v_lshlrev_b32_e32 v192, 4, v82
	v_lshlrev_b32_e32 v191, 4, v83
	ds_store_b128 v192, v[56:59] offset:128
	ds_store_b128 v192, v[48:51] offset:192
	ds_store_b128 v192, v[72:75]
	ds_store_b128 v192, v[64:67] offset:64
	ds_store_b128 v191, v[76:79]
	ds_store_b128 v191, v[68:71] offset:64
	ds_store_b128 v191, v[60:63] offset:128
	;; [unrolled: 1-line block ×3, first 2 shown]
	global_wb scope:SCOPE_SE
	s_wait_dscnt 0x0
	s_barrier_signal -1
	s_barrier_wait -1
	global_inv scope:SCOPE_SE
	s_clause 0x2
	global_load_b128 v[76:79], v[80:81], off offset:192
	global_load_b128 v[72:75], v[80:81], off offset:208
	;; [unrolled: 1-line block ×3, first 2 shown]
	ds_load_b128 v[48:51], v188 offset:7168
	ds_load_b128 v[52:55], v188 offset:14336
	;; [unrolled: 1-line block ×6, first 2 shown]
	s_wait_loadcnt_dscnt 0x205
	v_mul_f64_e32 v[84:85], v[50:51], v[78:79]
	v_mul_f64_e32 v[86:87], v[48:49], v[78:79]
	s_wait_loadcnt_dscnt 0x104
	v_mul_f64_e32 v[88:89], v[54:55], v[74:75]
	v_mul_f64_e32 v[90:91], v[52:53], v[74:75]
	;; [unrolled: 3-line block ×3, first 2 shown]
	s_wait_dscnt 0x2
	v_mul_f64_e32 v[96:97], v[62:63], v[78:79]
	v_mul_f64_e32 v[98:99], v[60:61], v[78:79]
	s_wait_dscnt 0x1
	v_mul_f64_e32 v[100:101], v[66:67], v[74:75]
	v_mul_f64_e32 v[102:103], v[64:65], v[74:75]
	;; [unrolled: 3-line block ×3, first 2 shown]
	v_fma_f64 v[84:85], v[48:49], v[76:77], -v[84:85]
	v_fma_f64 v[86:87], v[50:51], v[76:77], v[86:87]
	v_fma_f64 v[88:89], v[52:53], v[72:73], -v[88:89]
	v_fma_f64 v[90:91], v[54:55], v[72:73], v[90:91]
	;; [unrolled: 2-line block ×6, first 2 shown]
	ds_load_b128 v[48:51], v188
	ds_load_b128 v[52:55], v188 offset:3584
	global_wb scope:SCOPE_SE
	s_wait_dscnt 0x0
	s_barrier_signal -1
	s_barrier_wait -1
	global_inv scope:SCOPE_SE
	v_add_f64_e64 v[88:89], v[48:49], -v[88:89]
	v_add_f64_e64 v[90:91], v[50:51], -v[90:91]
	;; [unrolled: 1-line block ×8, first 2 shown]
	v_fma_f64 v[82:83], v[48:49], 2.0, -v[88:89]
	v_fma_f64 v[96:97], v[50:51], 2.0, -v[90:91]
	;; [unrolled: 1-line block ×4, first 2 shown]
	v_add_f64_e64 v[48:49], v[88:89], -v[58:59]
	v_add_f64_e32 v[50:51], v[90:91], v[56:57]
	v_fma_f64 v[98:99], v[52:53], 2.0, -v[92:93]
	v_fma_f64 v[100:101], v[54:55], 2.0, -v[94:95]
	;; [unrolled: 1-line block ×4, first 2 shown]
	v_add_f64_e64 v[52:53], v[92:93], -v[66:67]
	v_add_f64_e64 v[56:57], v[82:83], -v[80:81]
	;; [unrolled: 1-line block ×3, first 2 shown]
	v_fma_f64 v[66:67], v[90:91], 2.0, -v[50:51]
	v_add_f64_e64 v[60:61], v[98:99], -v[54:55]
	v_add_f64_e64 v[62:63], v[100:101], -v[62:63]
	v_add_f64_e32 v[54:55], v[94:95], v[64:65]
	v_fma_f64 v[64:65], v[88:89], 2.0, -v[48:49]
	v_fma_f64 v[80:81], v[92:93], 2.0, -v[52:53]
	v_mad_co_u64_u32 v[92:93], null, v132, 48, s[10:11]
	v_fma_f64 v[84:85], v[82:83], 2.0, -v[56:57]
	v_fma_f64 v[86:87], v[96:97], 2.0, -v[58:59]
	v_and_or_b32 v96, 0x7c0, v46, v108
	v_and_or_b32 v46, 0x700, v46, v133
	v_fma_f64 v[88:89], v[98:99], 2.0, -v[60:61]
	v_fma_f64 v[90:91], v[100:101], 2.0, -v[62:63]
	;; [unrolled: 1-line block ×3, first 2 shown]
	v_and_or_b32 v94, 0x3c0, v47, v108
	v_lshlrev_b32_e32 v195, 4, v96
	v_and_or_b32 v47, 0x300, v47, v132
	v_lshlrev_b32_e32 v193, 4, v46
	s_delay_alu instid0(VALU_DEP_4)
	v_lshlrev_b32_e32 v196, 4, v94
	v_mad_co_u64_u32 v[94:95], null, v133, 48, s[10:11]
	ds_store_b128 v196, v[56:59] offset:512
	ds_store_b128 v196, v[48:51] offset:768
	ds_store_b128 v196, v[84:87]
	ds_store_b128 v196, v[64:67] offset:256
	ds_store_b128 v195, v[88:91]
	ds_store_b128 v195, v[80:83] offset:256
	ds_store_b128 v195, v[60:63] offset:512
	;; [unrolled: 1-line block ×3, first 2 shown]
	global_wb scope:SCOPE_SE
	s_wait_dscnt 0x0
	s_barrier_signal -1
	s_barrier_wait -1
	global_inv scope:SCOPE_SE
	s_clause 0x5
	global_load_b128 v[88:91], v[92:93], off offset:960
	global_load_b128 v[84:87], v[92:93], off offset:976
	;; [unrolled: 1-line block ×6, first 2 shown]
	ds_load_b128 v[48:51], v188 offset:7168
	ds_load_b128 v[52:55], v188 offset:14336
	;; [unrolled: 1-line block ×6, first 2 shown]
	v_lshlrev_b32_e32 v194, 4, v47
	s_wait_loadcnt_dscnt 0x505
	v_mul_f64_e32 v[108:109], v[50:51], v[90:91]
	v_mul_f64_e32 v[110:111], v[48:49], v[90:91]
	s_wait_loadcnt_dscnt 0x404
	v_mul_f64_e32 v[112:113], v[54:55], v[86:87]
	v_mul_f64_e32 v[114:115], v[52:53], v[86:87]
	;; [unrolled: 3-line block ×6, first 2 shown]
	v_fma_f64 v[108:109], v[48:49], v[88:89], -v[108:109]
	v_fma_f64 v[110:111], v[50:51], v[88:89], v[110:111]
	v_fma_f64 v[112:113], v[52:53], v[84:85], -v[112:113]
	v_fma_f64 v[114:115], v[54:55], v[84:85], v[114:115]
	;; [unrolled: 2-line block ×6, first 2 shown]
	ds_load_b128 v[48:51], v188
	ds_load_b128 v[52:55], v188 offset:3584
	global_wb scope:SCOPE_SE
	s_wait_dscnt 0x0
	s_barrier_signal -1
	s_barrier_wait -1
	global_inv scope:SCOPE_SE
	v_add_f64_e64 v[112:113], v[48:49], -v[112:113]
	v_add_f64_e64 v[114:115], v[50:51], -v[114:115]
	;; [unrolled: 1-line block ×8, first 2 shown]
	v_fma_f64 v[116:117], v[48:49], 2.0, -v[112:113]
	v_fma_f64 v[118:119], v[50:51], 2.0, -v[114:115]
	;; [unrolled: 1-line block ×4, first 2 shown]
	v_add_f64_e64 v[48:49], v[112:113], -v[58:59]
	v_add_f64_e32 v[50:51], v[114:115], v[56:57]
	v_fma_f64 v[120:121], v[52:53], 2.0, -v[64:65]
	v_fma_f64 v[122:123], v[54:55], 2.0, -v[66:67]
	;; [unrolled: 1-line block ×4, first 2 shown]
	v_add_f64_e64 v[128:129], v[64:65], -v[106:107]
	v_add_f64_e32 v[130:131], v[66:67], v[104:105]
	v_add_f64_e64 v[52:53], v[116:117], -v[108:109]
	v_add_f64_e64 v[54:55], v[118:119], -v[110:111]
	;; [unrolled: 1-line block ×4, first 2 shown]
	v_fma_f64 v[60:61], v[112:113], 2.0, -v[48:49]
	v_fma_f64 v[62:63], v[114:115], 2.0, -v[50:51]
	;; [unrolled: 1-line block ×8, first 2 shown]
	ds_store_b128 v194, v[52:55] offset:2048
	ds_store_b128 v194, v[48:51] offset:3072
	ds_store_b128 v194, v[104:107]
	ds_store_b128 v194, v[60:63] offset:1024
	ds_store_b128 v193, v[108:111]
	ds_store_b128 v193, v[64:67] offset:1024
	ds_store_b128 v193, v[56:59] offset:2048
	;; [unrolled: 1-line block ×3, first 2 shown]
	global_wb scope:SCOPE_SE
	s_wait_dscnt 0x0
	s_barrier_signal -1
	s_barrier_wait -1
	global_inv scope:SCOPE_SE
	ds_load_b128 v[132:135], v188
	ds_load_b128 v[152:155], v188 offset:4096
	ds_load_b128 v[148:151], v188 offset:8192
	;; [unrolled: 1-line block ×6, first 2 shown]
	s_and_saveexec_b32 s2, vcc_lo
	s_cbranch_execz .LBB0_3
; %bb.2:
	ds_load_b128 v[128:131], v188 offset:3584
	ds_load_b128 v[160:163], v188 offset:7680
	;; [unrolled: 1-line block ×7, first 2 shown]
.LBB0_3:
	s_wait_alu 0xfffe
	s_or_b32 exec_lo, exec_lo, s2
	v_mad_co_u64_u32 v[56:57], null, 0x60, v187, s[10:11]
	v_and_b32_e32 v44, 0xff, v45
	s_mov_b32 s2, 0x37e14327
	s_mov_b32 s12, 0xe976ee23
	s_mov_b32 s14, 0x429ad128
	s_mov_b32 s3, 0x3fe948f6
	v_mad_co_u64_u32 v[58:59], null, 0x60, v44, s[10:11]
	s_clause 0x1
	global_load_b128 v[116:119], v[56:57], off offset:4032
	global_load_b128 v[108:111], v[56:57], off offset:4048
	s_mov_b32 s10, 0x36b3c0b5
	s_clause 0x9
	global_load_b128 v[112:115], v[56:57], off offset:4112
	global_load_b128 v[104:107], v[56:57], off offset:4096
	;; [unrolled: 1-line block ×10, first 2 shown]
	s_mov_b32 s11, 0x3fac98ee
	s_mov_b32 s13, 0xbfe11646
	;; [unrolled: 1-line block ×9, first 2 shown]
	s_wait_loadcnt_dscnt 0x900
	v_mul_f64_e32 v[205:206], v[158:159], v[114:115]
	v_mul_f64_e32 v[207:208], v[156:157], v[114:115]
	s_wait_loadcnt 0x8
	v_mul_f64_e32 v[209:210], v[146:147], v[106:107]
	v_mul_f64_e32 v[211:212], v[144:145], v[106:107]
	v_mul_f64_e32 v[197:198], v[154:155], v[118:119]
	v_mul_f64_e32 v[199:200], v[152:153], v[118:119]
	v_mul_f64_e32 v[201:202], v[150:151], v[110:111]
	v_mul_f64_e32 v[203:204], v[148:149], v[110:111]
	s_wait_loadcnt 0x7
	v_mul_f64_e32 v[213:214], v[162:163], v[50:51]
	v_mul_f64_e32 v[215:216], v[160:161], v[50:51]
	s_wait_loadcnt 0x6
	v_mul_f64_e32 v[217:218], v[170:171], v[46:47]
	v_mul_f64_e32 v[219:220], v[168:169], v[46:47]
	s_wait_loadcnt 0x5
	v_mul_f64_e32 v[221:222], v[182:183], v[54:55]
	v_mul_f64_e32 v[223:224], v[180:181], v[54:55]
	s_wait_loadcnt 0x4
	v_mul_f64_e32 v[225:226], v[178:179], v[66:67]
	v_mul_f64_e32 v[227:228], v[176:177], v[66:67]
	s_wait_loadcnt 0x3
	v_mul_f64_e32 v[229:230], v[142:143], v[126:127]
	v_mul_f64_e32 v[231:232], v[140:141], v[126:127]
	s_wait_loadcnt 0x2
	v_mul_f64_e32 v[233:234], v[138:139], v[122:123]
	v_mul_f64_e32 v[235:236], v[136:137], v[122:123]
	v_fma_f64 v[156:157], v[156:157], v[112:113], -v[205:206]
	v_fma_f64 v[158:159], v[158:159], v[112:113], v[207:208]
	v_fma_f64 v[144:145], v[144:145], v[104:105], -v[209:210]
	v_fma_f64 v[146:147], v[146:147], v[104:105], v[211:212]
	;; [unrolled: 2-line block ×4, first 2 shown]
	s_wait_loadcnt 0x1
	v_mul_f64_e32 v[197:198], v[166:167], v[62:63]
	v_mul_f64_e32 v[199:200], v[164:165], v[62:63]
	s_wait_loadcnt 0x0
	v_mul_f64_e32 v[201:202], v[174:175], v[58:59]
	v_mul_f64_e32 v[203:204], v[172:173], v[58:59]
	v_fma_f64 v[160:161], v[160:161], v[48:49], -v[213:214]
	v_fma_f64 v[162:163], v[162:163], v[48:49], v[215:216]
	v_fma_f64 v[168:169], v[168:169], v[44:45], -v[217:218]
	v_fma_f64 v[170:171], v[170:171], v[44:45], v[219:220]
	;; [unrolled: 2-line block ×6, first 2 shown]
	v_add_f64_e32 v[205:206], v[152:153], v[156:157]
	v_add_f64_e32 v[207:208], v[154:155], v[158:159]
	;; [unrolled: 1-line block ×4, first 2 shown]
	v_fma_f64 v[164:165], v[164:165], v[60:61], -v[197:198]
	v_fma_f64 v[166:167], v[166:167], v[60:61], v[199:200]
	v_fma_f64 v[172:173], v[172:173], v[56:57], -v[201:202]
	v_fma_f64 v[174:175], v[174:175], v[56:57], v[203:204]
	v_add_f64_e64 v[144:145], v[148:149], -v[144:145]
	v_add_f64_e64 v[146:147], v[150:151], -v[146:147]
	v_add_f64_e32 v[197:198], v[160:161], v[180:181]
	v_add_f64_e32 v[199:200], v[162:163], v[182:183]
	;; [unrolled: 1-line block ×4, first 2 shown]
	v_add_f64_e64 v[160:161], v[160:161], -v[180:181]
	v_add_f64_e64 v[162:163], v[162:163], -v[182:183]
	v_add_f64_e32 v[213:214], v[140:141], v[136:137]
	v_add_f64_e32 v[215:216], v[142:143], v[138:139]
	v_add_f64_e64 v[136:137], v[136:137], -v[140:141]
	v_add_f64_e64 v[138:139], v[138:139], -v[142:143]
	;; [unrolled: 1-line block ×6, first 2 shown]
	v_add_f64_e32 v[148:149], v[209:210], v[205:206]
	v_add_f64_e32 v[150:151], v[211:212], v[207:208]
	;; [unrolled: 1-line block ×4, first 2 shown]
	v_add_f64_e64 v[164:165], v[172:173], -v[164:165]
	v_add_f64_e64 v[166:167], v[174:175], -v[166:167]
	v_add_f64_e32 v[168:169], v[201:202], v[197:198]
	v_add_f64_e32 v[170:171], v[203:204], v[199:200]
	v_add_f64_e64 v[172:173], v[205:206], -v[213:214]
	v_add_f64_e64 v[174:175], v[207:208], -v[215:216]
	;; [unrolled: 1-line block ×12, first 2 shown]
	v_add_f64_e32 v[144:145], v[136:137], v[144:145]
	v_add_f64_e32 v[146:147], v[138:139], v[146:147]
	v_add_f64_e64 v[136:137], v[140:141], -v[136:137]
	v_add_f64_e64 v[138:139], v[142:143], -v[138:139]
	v_add_f64_e32 v[148:149], v[213:214], v[148:149]
	v_add_f64_e32 v[150:151], v[215:216], v[150:151]
	v_add_f64_e64 v[213:214], v[197:198], -v[156:157]
	v_add_f64_e64 v[215:216], v[199:200], -v[158:159]
	;; [unrolled: 1-line block ×6, first 2 shown]
	v_add_f64_e32 v[209:210], v[164:165], v[152:153]
	v_add_f64_e32 v[211:212], v[166:167], v[154:155]
	v_add_f64_e32 v[168:169], v[156:157], v[168:169]
	v_add_f64_e32 v[170:171], v[158:159], v[170:171]
	s_wait_alu 0xfffe
	v_mul_f64_e32 v[172:173], s[2:3], v[172:173]
	v_mul_f64_e32 v[174:175], s[2:3], v[174:175]
	;; [unrolled: 1-line block ×8, first 2 shown]
	v_add_f64_e32 v[140:141], v[144:145], v[140:141]
	v_add_f64_e32 v[142:143], v[146:147], v[142:143]
	;; [unrolled: 1-line block ×4, first 2 shown]
	v_add_f64_e64 v[132:133], v[160:161], -v[164:165]
	v_add_f64_e64 v[134:135], v[162:163], -v[166:167]
	v_mul_f64_e32 v[164:165], s[2:3], v[213:214]
	v_mul_f64_e32 v[166:167], s[2:3], v[215:216]
	;; [unrolled: 1-line block ×6, first 2 shown]
	s_mov_b32 s2, 0x5476071b
	s_mov_b32 s3, 0x3fe77f67
	v_add_f64_e32 v[152:153], v[128:129], v[168:169]
	v_add_f64_e32 v[154:155], v[130:131], v[170:171]
	v_add_f64_e64 v[128:129], v[201:202], -v[197:198]
	v_add_f64_e64 v[130:131], v[203:204], -v[199:200]
	v_mul_f64_e32 v[197:198], s[10:11], v[229:230]
	v_mul_f64_e32 v[199:200], s[10:11], v[231:232]
	s_mov_b32 s13, 0xbfe77f67
	s_wait_alu 0xfffe
	s_mov_b32 s12, s2
	v_add_f64_e32 v[144:145], v[209:210], v[160:161]
	v_add_f64_e32 v[146:147], v[211:212], v[162:163]
	v_fma_f64 v[160:161], v[176:177], s[10:11], v[172:173]
	v_fma_f64 v[162:163], v[178:179], s[10:11], v[174:175]
	v_fma_f64 v[176:177], v[205:206], s[2:3], -v[233:234]
	v_fma_f64 v[178:179], v[207:208], s[2:3], -v[235:236]
	v_fma_f64 v[201:202], v[136:137], s[18:19], v[180:181]
	v_fma_f64 v[203:204], v[138:139], s[18:19], v[182:183]
	v_fma_f64 v[180:181], v[217:218], s[14:15], -v[180:181]
	v_fma_f64 v[182:183], v[219:220], s[14:15], -v[182:183]
	;; [unrolled: 1-line block ×4, first 2 shown]
	s_wait_alu 0xfffe
	v_fma_f64 v[172:173], v[205:206], s[12:13], -v[172:173]
	v_fma_f64 v[174:175], v[207:208], s[12:13], -v[174:175]
	v_fma_f64 v[148:149], v[148:149], s[16:17], v[156:157]
	v_fma_f64 v[150:151], v[150:151], s[16:17], v[158:159]
	;; [unrolled: 1-line block ×6, first 2 shown]
	v_fma_f64 v[213:214], v[225:226], s[14:15], -v[213:214]
	v_fma_f64 v[215:216], v[227:228], s[14:15], -v[215:216]
	;; [unrolled: 1-line block ×4, first 2 shown]
	v_fma_f64 v[168:169], v[168:169], s[16:17], v[152:153]
	v_fma_f64 v[170:171], v[170:171], s[16:17], v[154:155]
	v_fma_f64 v[164:165], v[128:129], s[12:13], -v[164:165]
	v_fma_f64 v[166:167], v[130:131], s[12:13], -v[166:167]
	;; [unrolled: 1-line block ×4, first 2 shown]
	s_mov_b32 s2, 0x37c3f68c
	s_mov_b32 s3, 0x3fdc38aa
	s_wait_alu 0xfffe
	v_fma_f64 v[197:198], v[140:141], s[2:3], v[201:202]
	v_fma_f64 v[199:200], v[142:143], s[2:3], v[203:204]
	;; [unrolled: 1-line block ×6, first 2 shown]
	v_add_f64_e32 v[140:141], v[160:161], v[148:149]
	v_add_f64_e32 v[142:143], v[162:163], v[150:151]
	;; [unrolled: 1-line block ×6, first 2 shown]
	v_fma_f64 v[209:210], v[144:145], s[2:3], v[209:210]
	v_fma_f64 v[211:212], v[146:147], s[2:3], v[211:212]
	;; [unrolled: 1-line block ×6, first 2 shown]
	v_add_f64_e32 v[205:206], v[205:206], v[168:169]
	v_add_f64_e32 v[207:208], v[207:208], v[170:171]
	;; [unrolled: 1-line block ×7, first 2 shown]
	v_add_f64_e64 v[162:163], v[142:143], -v[197:198]
	v_add_f64_e32 v[164:165], v[138:139], v[201:202]
	v_add_f64_e64 v[166:167], v[203:204], -v[136:137]
	v_add_f64_e64 v[168:169], v[148:149], -v[182:183]
	v_add_f64_e32 v[170:171], v[180:181], v[150:151]
	v_add_f64_e32 v[172:173], v[182:183], v[148:149]
	v_add_f64_e64 v[174:175], v[150:151], -v[180:181]
	v_add_f64_e64 v[176:177], v[201:202], -v[138:139]
	v_add_f64_e32 v[178:179], v[136:137], v[203:204]
	v_add_f64_e64 v[180:181], v[140:141], -v[199:200]
	v_add_f64_e32 v[182:183], v[197:198], v[142:143]
	v_add_f64_e32 v[128:129], v[211:212], v[205:206]
	v_add_f64_e64 v[130:131], v[207:208], -v[209:210]
	v_add_f64_e32 v[132:133], v[144:145], v[146:147]
	v_add_f64_e64 v[134:135], v[219:220], -v[217:218]
	v_add_f64_e64 v[136:137], v[221:222], -v[215:216]
	v_add_f64_e32 v[138:139], v[213:214], v[223:224]
	v_add_f64_e32 v[140:141], v[215:216], v[221:222]
	v_add_f64_e64 v[142:143], v[223:224], -v[213:214]
	v_add_f64_e64 v[144:145], v[146:147], -v[144:145]
	v_add_f64_e32 v[146:147], v[217:218], v[219:220]
	v_add_f64_e64 v[148:149], v[205:206], -v[211:212]
	v_add_f64_e32 v[150:151], v[209:210], v[207:208]
	ds_store_b128 v188, v[156:159]
	ds_store_b128 v188, v[160:163] offset:4096
	ds_store_b128 v188, v[164:167] offset:8192
	ds_store_b128 v188, v[168:171] offset:12288
	ds_store_b128 v188, v[172:175] offset:16384
	ds_store_b128 v188, v[176:179] offset:20480
	ds_store_b128 v188, v[180:183] offset:24576
	s_and_saveexec_b32 s2, vcc_lo
	s_cbranch_execz .LBB0_5
; %bb.4:
	ds_store_b128 v188, v[152:155] offset:3584
	ds_store_b128 v188, v[128:131] offset:7680
	ds_store_b128 v188, v[132:135] offset:11776
	ds_store_b128 v188, v[136:139] offset:15872
	ds_store_b128 v188, v[140:143] offset:19968
	ds_store_b128 v188, v[144:147] offset:24064
	ds_store_b128 v188, v[148:151] offset:28160
.LBB0_5:
	s_wait_alu 0xfffe
	s_or_b32 exec_lo, exec_lo, s2
	v_lshlrev_b32_e32 v180, 4, v187
	s_add_nc_u64 s[2:3], s[8:9], 0x7000
	global_wb scope:SCOPE_SE
	s_wait_dscnt 0x0
	s_barrier_signal -1
	s_barrier_wait -1
	global_inv scope:SCOPE_SE
	s_clause 0x7
	global_load_b128 v[152:155], v[185:186], off offset:28672
	global_load_b128 v[156:159], v180, s[2:3] offset:7168
	global_load_b128 v[160:163], v180, s[2:3] offset:14336
	;; [unrolled: 1-line block ×7, first 2 shown]
	ds_load_b128 v[197:200], v188
	ds_load_b128 v[201:204], v188 offset:7168
	ds_load_b128 v[205:208], v188 offset:14336
	;; [unrolled: 1-line block ×7, first 2 shown]
	s_wait_loadcnt_dscnt 0x707
	v_mul_f64_e32 v[185:186], v[199:200], v[154:155]
	v_mul_f64_e32 v[154:155], v[197:198], v[154:155]
	s_wait_loadcnt_dscnt 0x606
	v_mul_f64_e32 v[229:230], v[203:204], v[158:159]
	v_mul_f64_e32 v[158:159], v[201:202], v[158:159]
	;; [unrolled: 3-line block ×8, first 2 shown]
	v_fma_f64 v[197:198], v[197:198], v[152:153], -v[185:186]
	v_fma_f64 v[199:200], v[199:200], v[152:153], v[154:155]
	v_fma_f64 v[152:153], v[201:202], v[156:157], -v[229:230]
	v_fma_f64 v[154:155], v[203:204], v[156:157], v[158:159]
	;; [unrolled: 2-line block ×8, first 2 shown]
	ds_store_b128 v188, v[197:200]
	ds_store_b128 v188, v[164:167] offset:3584
	ds_store_b128 v188, v[152:155] offset:7168
	;; [unrolled: 1-line block ×7, first 2 shown]
	global_wb scope:SCOPE_SE
	s_wait_dscnt 0x0
	s_barrier_signal -1
	s_barrier_wait -1
	global_inv scope:SCOPE_SE
	ds_load_b128 v[152:155], v188 offset:14336
	ds_load_b128 v[156:159], v188
	ds_load_b128 v[160:163], v188 offset:7168
	ds_load_b128 v[164:167], v188 offset:21504
	;; [unrolled: 1-line block ×6, first 2 shown]
	global_wb scope:SCOPE_SE
	s_wait_dscnt 0x0
	s_barrier_signal -1
	s_barrier_wait -1
	global_inv scope:SCOPE_SE
	v_add_f64_e64 v[185:186], v[156:157], -v[152:153]
	v_add_f64_e64 v[197:198], v[158:159], -v[154:155]
	;; [unrolled: 1-line block ×8, first 2 shown]
	v_fma_f64 v[182:183], v[156:157], 2.0, -v[185:186]
	v_fma_f64 v[199:200], v[158:159], 2.0, -v[197:198]
	;; [unrolled: 1-line block ×8, first 2 shown]
	v_add_f64_e32 v[152:153], v[185:186], v[152:153]
	v_add_f64_e64 v[154:155], v[197:198], -v[154:155]
	v_add_f64_e32 v[156:157], v[172:173], v[164:165]
	v_add_f64_e64 v[160:161], v[182:183], -v[158:159]
	v_add_f64_e64 v[162:163], v[199:200], -v[162:163]
	;; [unrolled: 1-line block ×5, first 2 shown]
	v_fma_f64 v[168:169], v[185:186], 2.0, -v[152:153]
	v_fma_f64 v[170:171], v[197:198], 2.0, -v[154:155]
	;; [unrolled: 1-line block ×8, first 2 shown]
	ds_store_b128 v190, v[160:163] offset:32
	ds_store_b128 v190, v[152:155] offset:48
	ds_store_b128 v190, v[176:179]
	ds_store_b128 v190, v[168:171] offset:16
	ds_store_b128 v189, v[180:183]
	ds_store_b128 v189, v[172:175] offset:16
	ds_store_b128 v189, v[164:167] offset:32
	;; [unrolled: 1-line block ×3, first 2 shown]
	global_wb scope:SCOPE_SE
	s_wait_dscnt 0x0
	s_barrier_signal -1
	s_barrier_wait -1
	global_inv scope:SCOPE_SE
	ds_load_b128 v[152:155], v188 offset:7168
	ds_load_b128 v[156:159], v188 offset:14336
	;; [unrolled: 1-line block ×6, first 2 shown]
	s_wait_dscnt 0x5
	v_mul_f64_e32 v[176:177], v[42:43], v[154:155]
	v_mul_f64_e32 v[178:179], v[42:43], v[152:153]
	s_wait_dscnt 0x4
	v_mul_f64_e32 v[180:181], v[38:39], v[158:159]
	v_mul_f64_e32 v[182:183], v[38:39], v[156:157]
	;; [unrolled: 3-line block ×6, first 2 shown]
	v_fma_f64 v[152:153], v[40:41], v[152:153], v[176:177]
	v_fma_f64 v[154:155], v[40:41], v[154:155], -v[178:179]
	v_fma_f64 v[156:157], v[36:37], v[156:157], v[180:181]
	v_fma_f64 v[158:159], v[36:37], v[158:159], -v[182:183]
	;; [unrolled: 2-line block ×6, first 2 shown]
	ds_load_b128 v[32:35], v188
	ds_load_b128 v[36:39], v188 offset:3584
	global_wb scope:SCOPE_SE
	s_wait_dscnt 0x0
	s_barrier_signal -1
	s_barrier_wait -1
	global_inv scope:SCOPE_SE
	v_add_f64_e64 v[156:157], v[32:33], -v[156:157]
	v_add_f64_e64 v[158:159], v[34:35], -v[158:159]
	;; [unrolled: 1-line block ×8, first 2 shown]
	v_fma_f64 v[168:169], v[32:33], 2.0, -v[156:157]
	v_fma_f64 v[170:171], v[34:35], 2.0, -v[158:159]
	;; [unrolled: 1-line block ×4, first 2 shown]
	v_add_f64_e32 v[32:33], v[156:157], v[162:163]
	v_add_f64_e64 v[34:35], v[158:159], -v[160:161]
	v_fma_f64 v[176:177], v[36:37], 2.0, -v[172:173]
	v_fma_f64 v[178:179], v[38:39], 2.0, -v[174:175]
	;; [unrolled: 1-line block ×4, first 2 shown]
	v_add_f64_e32 v[36:37], v[172:173], v[42:43]
	v_add_f64_e64 v[40:41], v[168:169], -v[152:153]
	v_add_f64_e64 v[42:43], v[170:171], -v[154:155]
	v_fma_f64 v[156:157], v[156:157], 2.0, -v[32:33]
	v_fma_f64 v[158:159], v[158:159], 2.0, -v[34:35]
	v_add_f64_e64 v[152:153], v[176:177], -v[38:39]
	v_add_f64_e64 v[154:155], v[178:179], -v[164:165]
	;; [unrolled: 1-line block ×3, first 2 shown]
	v_fma_f64 v[160:161], v[172:173], 2.0, -v[36:37]
	v_fma_f64 v[164:165], v[168:169], 2.0, -v[40:41]
	;; [unrolled: 1-line block ×6, first 2 shown]
	ds_store_b128 v192, v[40:43] offset:128
	ds_store_b128 v192, v[32:35] offset:192
	ds_store_b128 v192, v[164:167]
	ds_store_b128 v192, v[156:159] offset:64
	ds_store_b128 v191, v[168:171]
	ds_store_b128 v191, v[160:163] offset:64
	ds_store_b128 v191, v[152:155] offset:128
	;; [unrolled: 1-line block ×3, first 2 shown]
	global_wb scope:SCOPE_SE
	s_wait_dscnt 0x0
	s_barrier_signal -1
	s_barrier_wait -1
	global_inv scope:SCOPE_SE
	ds_load_b128 v[32:35], v188 offset:7168
	ds_load_b128 v[36:39], v188 offset:14336
	;; [unrolled: 1-line block ×6, first 2 shown]
	s_wait_dscnt 0x5
	v_mul_f64_e32 v[164:165], v[78:79], v[34:35]
	v_mul_f64_e32 v[166:167], v[78:79], v[32:33]
	s_wait_dscnt 0x4
	v_mul_f64_e32 v[168:169], v[74:75], v[38:39]
	v_mul_f64_e32 v[170:171], v[74:75], v[36:37]
	;; [unrolled: 3-line block ×6, first 2 shown]
	v_fma_f64 v[164:165], v[76:77], v[32:33], v[164:165]
	v_fma_f64 v[166:167], v[76:77], v[34:35], -v[166:167]
	v_fma_f64 v[168:169], v[72:73], v[36:37], v[168:169]
	v_fma_f64 v[170:171], v[72:73], v[38:39], -v[170:171]
	;; [unrolled: 2-line block ×6, first 2 shown]
	ds_load_b128 v[32:35], v188
	ds_load_b128 v[36:39], v188 offset:3584
	global_wb scope:SCOPE_SE
	s_wait_dscnt 0x0
	s_barrier_signal -1
	s_barrier_wait -1
	global_inv scope:SCOPE_SE
	v_add_f64_e64 v[154:155], v[32:33], -v[168:169]
	v_add_f64_e64 v[156:157], v[34:35], -v[170:171]
	;; [unrolled: 1-line block ×8, first 2 shown]
	v_fma_f64 v[158:159], v[32:33], 2.0, -v[154:155]
	v_fma_f64 v[162:163], v[34:35], 2.0, -v[156:157]
	;; [unrolled: 1-line block ×4, first 2 shown]
	v_add_f64_e32 v[32:33], v[154:155], v[42:43]
	v_add_f64_e64 v[34:35], v[156:157], -v[40:41]
	v_fma_f64 v[164:165], v[36:37], 2.0, -v[78:79]
	v_fma_f64 v[166:167], v[38:39], 2.0, -v[160:161]
	;; [unrolled: 1-line block ×4, first 2 shown]
	v_add_f64_e32 v[36:37], v[78:79], v[68:69]
	v_add_f64_e64 v[40:41], v[158:159], -v[70:71]
	v_add_f64_e64 v[42:43], v[162:163], -v[74:75]
	v_fma_f64 v[74:75], v[156:157], 2.0, -v[34:35]
	v_add_f64_e64 v[68:69], v[164:165], -v[38:39]
	v_add_f64_e64 v[70:71], v[166:167], -v[76:77]
	;; [unrolled: 1-line block ×3, first 2 shown]
	v_fma_f64 v[72:73], v[154:155], 2.0, -v[32:33]
	v_fma_f64 v[76:77], v[78:79], 2.0, -v[36:37]
	;; [unrolled: 1-line block ×7, first 2 shown]
	ds_store_b128 v196, v[40:43] offset:512
	ds_store_b128 v196, v[32:35] offset:768
	ds_store_b128 v196, v[152:155]
	ds_store_b128 v196, v[72:75] offset:256
	ds_store_b128 v195, v[156:159]
	ds_store_b128 v195, v[76:79] offset:256
	ds_store_b128 v195, v[68:71] offset:512
	;; [unrolled: 1-line block ×3, first 2 shown]
	global_wb scope:SCOPE_SE
	s_wait_dscnt 0x0
	s_barrier_signal -1
	s_barrier_wait -1
	global_inv scope:SCOPE_SE
	ds_load_b128 v[32:35], v188 offset:7168
	ds_load_b128 v[36:39], v188 offset:14336
	;; [unrolled: 1-line block ×6, first 2 shown]
	s_wait_dscnt 0x5
	v_mul_f64_e32 v[152:153], v[90:91], v[34:35]
	v_mul_f64_e32 v[90:91], v[90:91], v[32:33]
	s_wait_dscnt 0x4
	v_mul_f64_e32 v[154:155], v[86:87], v[38:39]
	v_mul_f64_e32 v[86:87], v[86:87], v[36:37]
	;; [unrolled: 3-line block ×6, first 2 shown]
	v_fma_f64 v[152:153], v[88:89], v[32:33], v[152:153]
	v_fma_f64 v[88:89], v[88:89], v[34:35], -v[90:91]
	v_fma_f64 v[90:91], v[84:85], v[36:37], v[154:155]
	v_fma_f64 v[84:85], v[84:85], v[38:39], -v[86:87]
	;; [unrolled: 2-line block ×6, first 2 shown]
	ds_load_b128 v[32:35], v188
	ds_load_b128 v[36:39], v188 offset:3584
	global_wb scope:SCOPE_SE
	s_wait_dscnt 0x0
	s_barrier_signal -1
	s_barrier_wait -1
	global_inv scope:SCOPE_SE
	v_add_f64_e64 v[80:81], v[32:33], -v[90:91]
	v_add_f64_e64 v[82:83], v[34:35], -v[84:85]
	;; [unrolled: 1-line block ×8, first 2 shown]
	v_fma_f64 v[78:79], v[32:33], 2.0, -v[80:81]
	v_fma_f64 v[86:87], v[34:35], 2.0, -v[82:83]
	;; [unrolled: 1-line block ×8, first 2 shown]
	v_add_f64_e32 v[36:37], v[80:81], v[42:43]
	v_add_f64_e64 v[38:39], v[82:83], -v[40:41]
	v_add_f64_e32 v[32:33], v[84:85], v[74:75]
	v_add_f64_e64 v[40:41], v[78:79], -v[34:35]
	v_add_f64_e64 v[42:43], v[86:87], -v[76:77]
	;; [unrolled: 1-line block ×5, first 2 shown]
	v_fma_f64 v[72:73], v[80:81], 2.0, -v[36:37]
	v_fma_f64 v[74:75], v[82:83], 2.0, -v[38:39]
	v_fma_f64 v[76:77], v[84:85], 2.0, -v[32:33]
	v_fma_f64 v[80:81], v[78:79], 2.0, -v[40:41]
	v_fma_f64 v[82:83], v[86:87], 2.0, -v[42:43]
	v_fma_f64 v[78:79], v[90:91], 2.0, -v[34:35]
	v_fma_f64 v[84:85], v[88:89], 2.0, -v[68:69]
	v_fma_f64 v[86:87], v[92:93], 2.0, -v[70:71]
	ds_store_b128 v194, v[40:43] offset:2048
	ds_store_b128 v194, v[36:39] offset:3072
	ds_store_b128 v194, v[80:83]
	ds_store_b128 v194, v[72:75] offset:1024
	ds_store_b128 v193, v[84:87]
	ds_store_b128 v193, v[76:79] offset:1024
	ds_store_b128 v193, v[68:71] offset:2048
	;; [unrolled: 1-line block ×3, first 2 shown]
	global_wb scope:SCOPE_SE
	s_wait_dscnt 0x0
	s_barrier_signal -1
	s_barrier_wait -1
	global_inv scope:SCOPE_SE
	ds_load_b128 v[36:39], v188
	ds_load_b128 v[80:83], v188 offset:4096
	ds_load_b128 v[76:79], v188 offset:8192
	;; [unrolled: 1-line block ×6, first 2 shown]
	s_and_saveexec_b32 s2, vcc_lo
	s_cbranch_execz .LBB0_7
; %bb.6:
	ds_load_b128 v[32:35], v188 offset:3584
	ds_load_b128 v[128:131], v188 offset:7680
	;; [unrolled: 1-line block ×7, first 2 shown]
.LBB0_7:
	s_wait_alu 0xfffe
	s_or_b32 exec_lo, exec_lo, s2
	s_wait_dscnt 0x5
	v_mul_f64_e32 v[88:89], v[118:119], v[82:83]
	v_mul_f64_e32 v[90:91], v[118:119], v[80:81]
	s_wait_dscnt 0x4
	v_mul_f64_e32 v[92:93], v[110:111], v[78:79]
	v_mul_f64_e32 v[94:95], v[110:111], v[76:77]
	;; [unrolled: 3-line block ×3, first 2 shown]
	v_mul_f64_e32 v[100:101], v[106:107], v[74:75]
	v_mul_f64_e32 v[102:103], v[106:107], v[72:73]
	;; [unrolled: 1-line block ×6, first 2 shown]
	s_mov_b32 s8, 0x37e14327
	s_mov_b32 s12, 0xe976ee23
	;; [unrolled: 1-line block ×16, first 2 shown]
	s_wait_alu 0xfffe
	s_mov_b32 s18, s14
	s_mov_b32 s22, s20
	;; [unrolled: 1-line block ×4, first 2 shown]
	v_fma_f64 v[80:81], v[116:117], v[80:81], v[88:89]
	v_fma_f64 v[82:83], v[116:117], v[82:83], -v[90:91]
	v_fma_f64 v[76:77], v[108:109], v[76:77], v[92:93]
	v_fma_f64 v[78:79], v[108:109], v[78:79], -v[94:95]
	;; [unrolled: 2-line block ×6, first 2 shown]
	v_add_f64_e32 v[88:89], v[80:81], v[84:85]
	v_add_f64_e32 v[90:91], v[82:83], v[86:87]
	v_add_f64_e32 v[92:93], v[76:77], v[72:73]
	v_add_f64_e32 v[94:95], v[78:79], v[74:75]
	v_add_f64_e64 v[72:73], v[76:77], -v[72:73]
	v_add_f64_e64 v[74:75], v[78:79], -v[74:75]
	v_add_f64_e32 v[76:77], v[68:69], v[40:41]
	v_add_f64_e32 v[78:79], v[70:71], v[42:43]
	v_add_f64_e64 v[40:41], v[40:41], -v[68:69]
	v_add_f64_e64 v[42:43], v[42:43], -v[70:71]
	;; [unrolled: 1-line block ×4, first 2 shown]
	v_add_f64_e32 v[80:81], v[92:93], v[88:89]
	v_add_f64_e32 v[82:83], v[94:95], v[90:91]
	v_add_f64_e64 v[84:85], v[88:89], -v[76:77]
	v_add_f64_e64 v[86:87], v[90:91], -v[78:79]
	;; [unrolled: 1-line block ×6, first 2 shown]
	v_add_f64_e32 v[72:73], v[40:41], v[72:73]
	v_add_f64_e32 v[74:75], v[42:43], v[74:75]
	v_add_f64_e64 v[40:41], v[68:69], -v[40:41]
	v_add_f64_e64 v[42:43], v[70:71], -v[42:43]
	v_add_f64_e64 v[88:89], v[92:93], -v[88:89]
	v_add_f64_e64 v[90:91], v[94:95], -v[90:91]
	v_add_f64_e32 v[80:81], v[76:77], v[80:81]
	v_add_f64_e32 v[82:83], v[78:79], v[82:83]
	v_add_f64_e64 v[76:77], v[76:77], -v[92:93]
	v_add_f64_e64 v[78:79], v[78:79], -v[94:95]
	v_mul_f64_e32 v[84:85], s[8:9], v[84:85]
	v_mul_f64_e32 v[86:87], s[8:9], v[86:87]
	;; [unrolled: 1-line block ×6, first 2 shown]
	v_add_f64_e32 v[68:69], v[72:73], v[68:69]
	v_add_f64_e32 v[70:71], v[74:75], v[70:71]
	;; [unrolled: 1-line block ×4, first 2 shown]
	v_mul_f64_e32 v[92:93], s[16:17], v[76:77]
	v_mul_f64_e32 v[94:95], s[16:17], v[78:79]
	v_fma_f64 v[72:73], v[76:77], s[16:17], v[84:85]
	v_fma_f64 v[74:75], v[78:79], s[16:17], v[86:87]
	;; [unrolled: 1-line block ×4, first 2 shown]
	v_fma_f64 v[96:97], v[100:101], s[2:3], -v[96:97]
	v_fma_f64 v[98:99], v[102:103], s[2:3], -v[98:99]
	;; [unrolled: 1-line block ×4, first 2 shown]
	s_wait_alu 0xfffe
	v_fma_f64 v[84:85], v[88:89], s[18:19], -v[84:85]
	v_fma_f64 v[86:87], v[90:91], s[18:19], -v[86:87]
	v_fma_f64 v[80:81], v[80:81], s[10:11], v[36:37]
	v_fma_f64 v[82:83], v[82:83], s[10:11], v[38:39]
	v_fma_f64 v[88:89], v[88:89], s[14:15], -v[92:93]
	v_fma_f64 v[90:91], v[90:91], s[14:15], -v[94:95]
	v_fma_f64 v[92:93], v[68:69], s[24:25], v[76:77]
	v_fma_f64 v[94:95], v[70:71], s[24:25], v[78:79]
	;; [unrolled: 1-line block ×6, first 2 shown]
	v_add_f64_e32 v[100:101], v[72:73], v[80:81]
	v_add_f64_e32 v[102:103], v[74:75], v[82:83]
	v_add_f64_e32 v[84:85], v[84:85], v[80:81]
	v_add_f64_e32 v[86:87], v[86:87], v[82:83]
	v_add_f64_e32 v[80:81], v[88:89], v[80:81]
	v_add_f64_e32 v[82:83], v[90:91], v[82:83]
	v_add_f64_e32 v[40:41], v[94:95], v[100:101]
	v_add_f64_e64 v[42:43], v[102:103], -v[92:93]
	v_add_f64_e32 v[68:69], v[98:99], v[84:85]
	v_add_f64_e64 v[70:71], v[86:87], -v[96:97]
	v_add_f64_e64 v[72:73], v[80:81], -v[76:77]
	v_add_f64_e32 v[74:75], v[78:79], v[82:83]
	v_add_f64_e32 v[76:77], v[76:77], v[80:81]
	v_add_f64_e64 v[78:79], v[82:83], -v[78:79]
	v_add_f64_e64 v[80:81], v[84:85], -v[98:99]
	v_add_f64_e32 v[82:83], v[96:97], v[86:87]
	v_add_f64_e64 v[84:85], v[100:101], -v[94:95]
	v_add_f64_e32 v[86:87], v[92:93], v[102:103]
	ds_store_b128 v188, v[36:39]
	ds_store_b128 v188, v[40:43] offset:4096
	ds_store_b128 v188, v[68:71] offset:8192
	ds_store_b128 v188, v[72:75] offset:12288
	ds_store_b128 v188, v[76:79] offset:16384
	ds_store_b128 v188, v[80:83] offset:20480
	ds_store_b128 v188, v[84:87] offset:24576
	s_and_saveexec_b32 s26, vcc_lo
	s_cbranch_execz .LBB0_9
; %bb.8:
	v_mul_f64_e32 v[36:37], v[54:55], v[148:149]
	v_mul_f64_e32 v[38:39], v[50:51], v[128:129]
	;; [unrolled: 1-line block ×12, first 2 shown]
	v_fma_f64 v[36:37], v[52:53], v[150:151], -v[36:37]
	v_fma_f64 v[38:39], v[48:49], v[130:131], -v[38:39]
	v_fma_f64 v[40:41], v[64:65], v[146:147], -v[40:41]
	v_fma_f64 v[42:43], v[44:45], v[134:135], -v[42:43]
	v_fma_f64 v[48:49], v[48:49], v[128:129], v[50:51]
	v_fma_f64 v[50:51], v[52:53], v[148:149], v[54:55]
	;; [unrolled: 1-line block ×6, first 2 shown]
	v_fma_f64 v[60:61], v[60:61], v[138:139], -v[62:63]
	v_fma_f64 v[56:57], v[56:57], v[142:143], -v[58:59]
	v_add_f64_e32 v[58:59], v[38:39], v[36:37]
	v_add_f64_e64 v[36:37], v[38:39], -v[36:37]
	v_add_f64_e32 v[62:63], v[42:43], v[40:41]
	v_add_f64_e64 v[40:41], v[42:43], -v[40:41]
	;; [unrolled: 2-line block ×4, first 2 shown]
	v_add_f64_e64 v[68:69], v[52:53], -v[54:55]
	v_add_f64_e32 v[52:53], v[54:55], v[52:53]
	v_add_f64_e32 v[46:47], v[60:61], v[56:57]
	v_add_f64_e64 v[54:55], v[56:57], -v[60:61]
	v_add_f64_e32 v[50:51], v[62:63], v[58:59]
	v_add_f64_e64 v[74:75], v[40:41], -v[36:37]
	;; [unrolled: 2-line block ×3, first 2 shown]
	v_add_f64_e64 v[42:43], v[68:69], -v[44:45]
	v_add_f64_e64 v[60:61], v[64:65], -v[52:53]
	;; [unrolled: 1-line block ×5, first 2 shown]
	v_add_f64_e32 v[44:45], v[68:69], v[44:45]
	v_add_f64_e32 v[40:41], v[54:55], v[40:41]
	v_add_f64_e64 v[54:55], v[36:37], -v[54:55]
	v_add_f64_e64 v[58:59], v[62:63], -v[58:59]
	v_add_f64_e64 v[64:65], v[66:67], -v[64:65]
	v_add_f64_e32 v[50:51], v[46:47], v[50:51]
	v_add_f64_e64 v[46:47], v[46:47], -v[62:63]
	v_mul_f64_e32 v[78:79], s[2:3], v[74:75]
	v_add_f64_e32 v[38:39], v[52:53], v[38:39]
	v_add_f64_e64 v[52:53], v[52:53], -v[66:67]
	v_mul_f64_e32 v[42:43], s[12:13], v[42:43]
	v_mul_f64_e32 v[60:61], s[8:9], v[60:61]
	;; [unrolled: 1-line block ×5, first 2 shown]
	v_add_f64_e32 v[44:45], v[44:45], v[48:49]
	v_add_f64_e32 v[36:37], v[40:41], v[36:37]
	;; [unrolled: 1-line block ×3, first 2 shown]
	v_mul_f64_e32 v[62:63], s[16:17], v[46:47]
	v_add_f64_e32 v[32:33], v[32:33], v[38:39]
	v_mul_f64_e32 v[66:67], s[16:17], v[52:53]
	v_fma_f64 v[40:41], v[76:77], s[20:21], v[42:43]
	v_fma_f64 v[48:49], v[52:53], s[16:17], v[60:61]
	v_fma_f64 v[46:47], v[46:47], s[16:17], v[56:57]
	v_fma_f64 v[52:53], v[76:77], s[22:23], -v[68:69]
	v_fma_f64 v[56:57], v[58:59], s[18:19], -v[56:57]
	;; [unrolled: 1-line block ×5, first 2 shown]
	v_fma_f64 v[50:51], v[50:51], s[10:11], v[34:35]
	v_fma_f64 v[58:59], v[58:59], s[14:15], -v[62:63]
	v_fma_f64 v[62:63], v[54:55], s[20:21], v[72:73]
	v_fma_f64 v[54:55], v[54:55], s[22:23], -v[78:79]
	;; [unrolled: 2-line block ×3, first 2 shown]
	v_fma_f64 v[40:41], v[44:45], s[24:25], v[40:41]
	v_fma_f64 v[52:53], v[44:45], s[24:25], v[52:53]
	v_fma_f64 v[44:45], v[44:45], s[24:25], v[42:43]
	v_add_f64_e32 v[66:67], v[46:47], v[50:51]
	v_add_f64_e32 v[56:57], v[56:57], v[50:51]
	v_fma_f64 v[62:63], v[36:37], s[24:25], v[62:63]
	v_fma_f64 v[70:71], v[36:37], s[24:25], v[54:55]
	;; [unrolled: 1-line block ×3, first 2 shown]
	v_add_f64_e32 v[68:69], v[48:49], v[38:39]
	v_add_f64_e32 v[60:61], v[60:61], v[38:39]
	;; [unrolled: 1-line block ×4, first 2 shown]
	v_add_f64_e64 v[58:59], v[66:67], -v[40:41]
	v_add_f64_e32 v[42:43], v[52:53], v[56:57]
	v_add_f64_e64 v[54:55], v[56:57], -v[52:53]
	v_add_f64_e32 v[38:39], v[40:41], v[66:67]
	v_add_f64_e32 v[56:57], v[62:63], v[68:69]
	;; [unrolled: 1-line block ×3, first 2 shown]
	v_add_f64_e64 v[46:47], v[50:51], -v[44:45]
	v_add_f64_e32 v[50:51], v[44:45], v[50:51]
	v_add_f64_e64 v[48:49], v[64:65], -v[36:37]
	v_add_f64_e32 v[44:45], v[36:37], v[64:65]
	v_add_f64_e64 v[40:41], v[60:61], -v[70:71]
	v_add_f64_e64 v[36:37], v[68:69], -v[62:63]
	ds_store_b128 v188, v[32:35] offset:3584
	ds_store_b128 v188, v[56:59] offset:7680
	;; [unrolled: 1-line block ×7, first 2 shown]
.LBB0_9:
	s_or_b32 exec_lo, exec_lo, s26
	global_wb scope:SCOPE_SE
	s_wait_dscnt 0x0
	s_barrier_signal -1
	s_barrier_wait -1
	global_inv scope:SCOPE_SE
	ds_load_b128 v[32:35], v188
	ds_load_b128 v[36:39], v188 offset:7168
	ds_load_b128 v[40:43], v188 offset:14336
	;; [unrolled: 1-line block ×7, first 2 shown]
	v_mad_co_u64_u32 v[64:65], null, s6, v184, 0
	v_mad_co_u64_u32 v[66:67], null, s4, v187, 0
	s_mov_b32 s2, 0x92492492
	s_mov_b32 s3, 0x3f424924
	s_delay_alu instid0(VALU_DEP_1)
	v_mad_co_u64_u32 v[84:85], null, s7, v184, v[65:66]
	s_wait_dscnt 0x7
	v_mul_f64_e32 v[68:69], v[14:15], v[34:35]
	v_mul_f64_e32 v[14:15], v[14:15], v[32:33]
	s_wait_dscnt 0x6
	v_mul_f64_e32 v[70:71], v[18:19], v[38:39]
	v_mul_f64_e32 v[18:19], v[18:19], v[36:37]
	;; [unrolled: 3-line block ×8, first 2 shown]
	v_mov_b32_e32 v65, v84
	s_delay_alu instid0(VALU_DEP_1)
	v_lshlrev_b64_e32 v[64:65], 4, v[64:65]
	v_fma_f64 v[32:33], v[12:13], v[32:33], v[68:69]
	v_fma_f64 v[12:13], v[12:13], v[34:35], -v[14:15]
	v_fma_f64 v[14:15], v[16:17], v[36:37], v[70:71]
	v_fma_f64 v[16:17], v[16:17], v[38:39], -v[18:19]
	;; [unrolled: 2-line block ×8, first 2 shown]
	v_mad_co_u64_u32 v[85:86], null, s5, v187, v[67:68]
	v_add_co_u32 v2, vcc_lo, s0, v64
	s_wait_alu 0xfffd
	v_add_co_ci_u32_e32 v3, vcc_lo, s1, v65, vcc_lo
	s_mul_u64 s[0:1], s[4:5], 0x1c00
	s_delay_alu instid0(VALU_DEP_3) | instskip(NEXT) | instid1(VALU_DEP_1)
	v_mov_b32_e32 v67, v85
	v_lshlrev_b64_e32 v[0:1], 4, v[66:67]
	s_delay_alu instid0(VALU_DEP_1) | instskip(SKIP_1) | instid1(VALU_DEP_2)
	v_add_co_u32 v50, vcc_lo, v2, v0
	s_wait_alu 0xfffd
	v_add_co_ci_u32_e32 v51, vcc_lo, v3, v1, vcc_lo
	s_wait_alu 0xfffe
	v_mul_f64_e32 v[0:1], s[2:3], v[32:33]
	v_add_co_u32 v52, vcc_lo, v50, s0
	s_wait_alu 0xfffd
	v_add_co_ci_u32_e32 v53, vcc_lo, s1, v51, vcc_lo
	v_mul_f64_e32 v[2:3], s[2:3], v[12:13]
	v_mul_f64_e32 v[4:5], s[2:3], v[14:15]
	;; [unrolled: 1-line block ×5, first 2 shown]
	v_add_co_u32 v54, vcc_lo, v52, s0
	v_mul_f64_e32 v[12:13], s[2:3], v[36:37]
	v_mul_f64_e32 v[14:15], s[2:3], v[38:39]
	;; [unrolled: 1-line block ×4, first 2 shown]
	s_wait_alu 0xfffd
	v_add_co_ci_u32_e32 v55, vcc_lo, s1, v53, vcc_lo
	v_mul_f64_e32 v[20:21], s[2:3], v[44:45]
	v_mul_f64_e32 v[22:23], s[2:3], v[22:23]
	v_mul_f64_e32 v[24:25], s[2:3], v[46:47]
	v_mul_f64_e32 v[26:27], s[2:3], v[26:27]
	v_mul_f64_e32 v[28:29], s[2:3], v[48:49]
	v_mul_f64_e32 v[30:31], s[2:3], v[30:31]
	v_add_co_u32 v32, vcc_lo, v54, s0
	s_wait_alu 0xfffd
	v_add_co_ci_u32_e32 v33, vcc_lo, s1, v55, vcc_lo
	s_mul_i32 s2, s5, 0xffffba00
	s_wait_alu 0xfffe
	s_sub_co_i32 s2, s2, s4
	s_delay_alu instid0(VALU_DEP_1) | instskip(SKIP_1) | instid1(VALU_DEP_1)
	v_mad_co_u64_u32 v[34:35], null, 0xffffba00, s4, v[32:33]
	s_wait_alu 0xfffe
	v_add_nc_u32_e32 v35, s2, v35
	s_delay_alu instid0(VALU_DEP_2) | instskip(SKIP_1) | instid1(VALU_DEP_2)
	v_add_co_u32 v36, vcc_lo, v34, s0
	s_wait_alu 0xfffd
	v_add_co_ci_u32_e32 v37, vcc_lo, s1, v35, vcc_lo
	s_delay_alu instid0(VALU_DEP_2) | instskip(SKIP_1) | instid1(VALU_DEP_2)
	v_add_co_u32 v38, vcc_lo, v36, s0
	s_wait_alu 0xfffd
	v_add_co_ci_u32_e32 v39, vcc_lo, s1, v37, vcc_lo
	;; [unrolled: 4-line block ×3, first 2 shown]
	s_clause 0x4
	global_store_b128 v[50:51], v[0:3], off
	global_store_b128 v[52:53], v[4:7], off
	;; [unrolled: 1-line block ×8, first 2 shown]
.LBB0_10:
	s_nop 0
	s_sendmsg sendmsg(MSG_DEALLOC_VGPRS)
	s_endpgm
	.section	.rodata,"a",@progbits
	.p2align	6, 0x0
	.amdhsa_kernel bluestein_single_back_len1792_dim1_dp_op_CI_CI
		.amdhsa_group_segment_fixed_size 28672
		.amdhsa_private_segment_fixed_size 0
		.amdhsa_kernarg_size 104
		.amdhsa_user_sgpr_count 2
		.amdhsa_user_sgpr_dispatch_ptr 0
		.amdhsa_user_sgpr_queue_ptr 0
		.amdhsa_user_sgpr_kernarg_segment_ptr 1
		.amdhsa_user_sgpr_dispatch_id 0
		.amdhsa_user_sgpr_private_segment_size 0
		.amdhsa_wavefront_size32 1
		.amdhsa_uses_dynamic_stack 0
		.amdhsa_enable_private_segment 0
		.amdhsa_system_sgpr_workgroup_id_x 1
		.amdhsa_system_sgpr_workgroup_id_y 0
		.amdhsa_system_sgpr_workgroup_id_z 0
		.amdhsa_system_sgpr_workgroup_info 0
		.amdhsa_system_vgpr_workitem_id 0
		.amdhsa_next_free_vgpr 243
		.amdhsa_next_free_sgpr 27
		.amdhsa_reserve_vcc 1
		.amdhsa_float_round_mode_32 0
		.amdhsa_float_round_mode_16_64 0
		.amdhsa_float_denorm_mode_32 3
		.amdhsa_float_denorm_mode_16_64 3
		.amdhsa_fp16_overflow 0
		.amdhsa_workgroup_processor_mode 1
		.amdhsa_memory_ordered 1
		.amdhsa_forward_progress 0
		.amdhsa_round_robin_scheduling 0
		.amdhsa_exception_fp_ieee_invalid_op 0
		.amdhsa_exception_fp_denorm_src 0
		.amdhsa_exception_fp_ieee_div_zero 0
		.amdhsa_exception_fp_ieee_overflow 0
		.amdhsa_exception_fp_ieee_underflow 0
		.amdhsa_exception_fp_ieee_inexact 0
		.amdhsa_exception_int_div_zero 0
	.end_amdhsa_kernel
	.text
.Lfunc_end0:
	.size	bluestein_single_back_len1792_dim1_dp_op_CI_CI, .Lfunc_end0-bluestein_single_back_len1792_dim1_dp_op_CI_CI
                                        ; -- End function
	.section	.AMDGPU.csdata,"",@progbits
; Kernel info:
; codeLenInByte = 10820
; NumSgprs: 29
; NumVgprs: 243
; ScratchSize: 0
; MemoryBound: 0
; FloatMode: 240
; IeeeMode: 1
; LDSByteSize: 28672 bytes/workgroup (compile time only)
; SGPRBlocks: 3
; VGPRBlocks: 30
; NumSGPRsForWavesPerEU: 29
; NumVGPRsForWavesPerEU: 243
; Occupancy: 5
; WaveLimiterHint : 1
; COMPUTE_PGM_RSRC2:SCRATCH_EN: 0
; COMPUTE_PGM_RSRC2:USER_SGPR: 2
; COMPUTE_PGM_RSRC2:TRAP_HANDLER: 0
; COMPUTE_PGM_RSRC2:TGID_X_EN: 1
; COMPUTE_PGM_RSRC2:TGID_Y_EN: 0
; COMPUTE_PGM_RSRC2:TGID_Z_EN: 0
; COMPUTE_PGM_RSRC2:TIDIG_COMP_CNT: 0
	.text
	.p2alignl 7, 3214868480
	.fill 96, 4, 3214868480
	.type	__hip_cuid_520ffac3d538a2e8,@object ; @__hip_cuid_520ffac3d538a2e8
	.section	.bss,"aw",@nobits
	.globl	__hip_cuid_520ffac3d538a2e8
__hip_cuid_520ffac3d538a2e8:
	.byte	0                               ; 0x0
	.size	__hip_cuid_520ffac3d538a2e8, 1

	.ident	"AMD clang version 19.0.0git (https://github.com/RadeonOpenCompute/llvm-project roc-6.4.0 25133 c7fe45cf4b819c5991fe208aaa96edf142730f1d)"
	.section	".note.GNU-stack","",@progbits
	.addrsig
	.addrsig_sym __hip_cuid_520ffac3d538a2e8
	.amdgpu_metadata
---
amdhsa.kernels:
  - .args:
      - .actual_access:  read_only
        .address_space:  global
        .offset:         0
        .size:           8
        .value_kind:     global_buffer
      - .actual_access:  read_only
        .address_space:  global
        .offset:         8
        .size:           8
        .value_kind:     global_buffer
      - .actual_access:  read_only
        .address_space:  global
        .offset:         16
        .size:           8
        .value_kind:     global_buffer
      - .actual_access:  read_only
        .address_space:  global
        .offset:         24
        .size:           8
        .value_kind:     global_buffer
      - .actual_access:  read_only
        .address_space:  global
        .offset:         32
        .size:           8
        .value_kind:     global_buffer
      - .offset:         40
        .size:           8
        .value_kind:     by_value
      - .address_space:  global
        .offset:         48
        .size:           8
        .value_kind:     global_buffer
      - .address_space:  global
        .offset:         56
        .size:           8
        .value_kind:     global_buffer
      - .address_space:  global
        .offset:         64
        .size:           8
        .value_kind:     global_buffer
      - .address_space:  global
        .offset:         72
        .size:           8
        .value_kind:     global_buffer
      - .offset:         80
        .size:           4
        .value_kind:     by_value
      - .address_space:  global
        .offset:         88
        .size:           8
        .value_kind:     global_buffer
      - .address_space:  global
        .offset:         96
        .size:           8
        .value_kind:     global_buffer
    .group_segment_fixed_size: 28672
    .kernarg_segment_align: 8
    .kernarg_segment_size: 104
    .language:       OpenCL C
    .language_version:
      - 2
      - 0
    .max_flat_workgroup_size: 224
    .name:           bluestein_single_back_len1792_dim1_dp_op_CI_CI
    .private_segment_fixed_size: 0
    .sgpr_count:     29
    .sgpr_spill_count: 0
    .symbol:         bluestein_single_back_len1792_dim1_dp_op_CI_CI.kd
    .uniform_work_group_size: 1
    .uses_dynamic_stack: false
    .vgpr_count:     243
    .vgpr_spill_count: 0
    .wavefront_size: 32
    .workgroup_processor_mode: 1
amdhsa.target:   amdgcn-amd-amdhsa--gfx1201
amdhsa.version:
  - 1
  - 2
...

	.end_amdgpu_metadata
